;; amdgpu-corpus repo=ROCm/rocFFT kind=compiled arch=gfx1030 opt=O3
	.text
	.amdgcn_target "amdgcn-amd-amdhsa--gfx1030"
	.amdhsa_code_object_version 6
	.protected	bluestein_single_back_len2048_dim1_sp_op_CI_CI ; -- Begin function bluestein_single_back_len2048_dim1_sp_op_CI_CI
	.globl	bluestein_single_back_len2048_dim1_sp_op_CI_CI
	.p2align	8
	.type	bluestein_single_back_len2048_dim1_sp_op_CI_CI,@function
bluestein_single_back_len2048_dim1_sp_op_CI_CI: ; @bluestein_single_back_len2048_dim1_sp_op_CI_CI
; %bb.0:
	s_load_dwordx4 s[0:3], s[4:5], 0x28
	s_mov_b32 s7, 0
	s_waitcnt lgkmcnt(0)
	v_cmp_lt_u64_e64 s0, s[6:7], s[0:1]
	s_and_saveexec_b32 s1, s0
	s_cbranch_execz .LBB0_23
; %bb.1:
	s_clause 0x1
	s_load_dwordx2 s[14:15], s[4:5], 0x0
	s_load_dwordx2 s[12:13], s[4:5], 0x38
	v_mov_b32_e32 v74, s7
	v_mov_b32_e32 v73, s6
	v_cmp_gt_u32_e32 vcc_lo, 0x80, v0
	v_lshlrev_b32_e32 v86, 3, v0
	v_or_b32_e32 v78, 0x80, v0
	v_or_b32_e32 v79, 0x180, v0
	;; [unrolled: 1-line block ×8, first 2 shown]
	s_and_saveexec_b32 s1, vcc_lo
	s_cbranch_execz .LBB0_3
; %bb.2:
	s_load_dwordx2 s[6:7], s[4:5], 0x18
	v_lshlrev_b32_e32 v5, 3, v79
	v_lshlrev_b32_e32 v39, 3, v82
	;; [unrolled: 1-line block ×5, first 2 shown]
	v_or_b32_e32 v46, 0x1800, v86
	v_or_b32_e32 v48, 0x2000, v86
	;; [unrolled: 1-line block ×5, first 2 shown]
	s_waitcnt lgkmcnt(0)
	s_load_dwordx4 s[8:11], s[6:7], 0x0
	s_clause 0x4
	global_load_dwordx2 v[1:2], v86, s[14:15]
	global_load_dwordx2 v[3:4], v86, s[14:15] offset:1024
	global_load_dwordx2 v[5:6], v5, s[14:15]
	global_load_dwordx2 v[7:8], v7, s[14:15]
	;; [unrolled: 1-line block ×3, first 2 shown]
	s_waitcnt lgkmcnt(0)
	v_mad_u64_u32 v[11:12], null, s10, v73, 0
	v_mad_u64_u32 v[13:14], null, s8, v0, 0
	;; [unrolled: 1-line block ×11, first 2 shown]
	v_mov_b32_e32 v12, v29
	v_mad_u64_u32 v[27:28], null, s8, v84, 0
	v_mad_u64_u32 v[32:33], null, s9, v79, v[18:19]
	v_mov_b32_e32 v14, v30
	v_lshlrev_b64 v[11:12], 3, v[11:12]
	v_mad_u64_u32 v[33:34], null, s9, v80, v[20:21]
	v_mad_u64_u32 v[34:35], null, s9, v81, v[22:23]
	;; [unrolled: 1-line block ×3, first 2 shown]
	v_mov_b32_e32 v16, v31
	v_mad_u64_u32 v[36:37], null, s9, v83, v[26:27]
	v_mad_u64_u32 v[37:38], null, s9, v84, v[28:29]
	v_lshlrev_b64 v[13:14], 3, v[13:14]
	v_add_co_u32 v38, s0, s2, v11
	v_lshlrev_b64 v[15:16], 3, v[15:16]
	v_add_co_ci_u32_e64 v40, s0, s3, v12, s0
	v_add_co_u32 v13, s0, v38, v13
	v_mov_b32_e32 v20, v33
	v_add_co_ci_u32_e64 v14, s0, v40, v14, s0
	v_add_co_u32 v15, s0, v38, v15
	v_add_co_ci_u32_e64 v16, s0, v40, v16, s0
	v_mov_b32_e32 v18, v32
	v_lshlrev_b64 v[11:12], 3, v[19:20]
	s_clause 0x1
	global_load_dwordx2 v[19:20], v[13:14], off
	global_load_dwordx2 v[15:16], v[15:16], off
	global_load_dwordx2 v[31:32], v39, s[14:15]
	v_mad_u64_u32 v[29:30], null, s8, v85, 0
	v_lshlrev_b64 v[17:18], 3, v[17:18]
	v_mov_b32_e32 v22, v34
	v_mov_b32_e32 v24, v35
	;; [unrolled: 1-line block ×4, first 2 shown]
	s_lshl_b64 s[2:3], s[8:9], 11
	v_add_co_u32 v17, s0, v38, v17
	v_lshlrev_b64 v[21:22], 3, v[21:22]
	v_add_co_ci_u32_e64 v18, s0, v40, v18, s0
	v_add_co_u32 v11, s0, v38, v11
	v_lshlrev_b64 v[23:24], 3, v[23:24]
	v_add_co_ci_u32_e64 v12, s0, v40, v12, s0
	v_lshlrev_b64 v[25:26], 3, v[25:26]
	v_add_co_u32 v21, s0, v38, v21
	v_add_co_ci_u32_e64 v22, s0, v40, v22, s0
	v_add_co_u32 v23, s0, v38, v23
	v_lshlrev_b64 v[27:28], 3, v[27:28]
	v_add_co_ci_u32_e64 v24, s0, v40, v24, s0
	v_add_co_u32 v25, s0, v38, v25
	v_add_co_ci_u32_e64 v26, s0, v40, v26, s0
	v_add_co_u32 v27, s0, v38, v27
	;; [unrolled: 2-line block ×3, first 2 shown]
	v_lshlrev_b32_e32 v35, 3, v83
	v_lshlrev_b32_e32 v36, 3, v84
	v_add_co_ci_u32_e64 v14, s0, s3, v14, s0
	s_clause 0x3
	global_load_dwordx2 v[17:18], v[17:18], off
	global_load_dwordx2 v[21:22], v[21:22], off
	;; [unrolled: 1-line block ×4, first 2 shown]
	s_waitcnt vmcnt(6)
	v_mul_f32_e32 v66, v20, v2
	s_waitcnt vmcnt(5)
	v_mul_f32_e32 v69, v15, v4
	s_waitcnt vmcnt(4)
	v_mad_u64_u32 v[33:34], null, s9, v85, v[30:31]
	global_load_dwordx2 v[34:35], v35, s[14:15]
	global_load_dwordx2 v[25:26], v[25:26], off
	global_load_dwordx2 v[36:37], v36, s[14:15]
	v_mul_f32_e32 v68, v16, v4
	v_fmac_f32_e32 v66, v19, v1
	v_fma_f32 v69, v16, v3, -v69
	v_mov_b32_e32 v30, v33
	v_or_b32_e32 v33, 0x800, v86
	v_fmac_f32_e32 v68, v15, v3
	v_lshlrev_b64 v[29:30], 3, v[29:30]
	v_add_co_u32 v29, s0, v38, v29
	v_add_co_ci_u32_e64 v30, s0, v40, v30, s0
	global_load_dwordx2 v[27:28], v[27:28], off
	global_load_dwordx2 v[38:39], v33, s[14:15]
	global_load_dwordx2 v[40:41], v[13:14], off
	global_load_dwordx2 v[42:43], v42, s[14:15]
	global_load_dwordx2 v[29:30], v[29:30], off
	v_add_co_u32 v13, s0, v13, s2
	v_add_co_ci_u32_e64 v14, s0, s3, v14, s0
	v_or_b32_e32 v33, 0x1000, v86
	v_add_co_u32 v50, s0, v13, s2
	v_add_co_ci_u32_e64 v51, s0, s3, v14, s0
	s_clause 0x2
	global_load_dwordx2 v[44:45], v33, s[14:15]
	global_load_dwordx2 v[46:47], v46, s[14:15]
	;; [unrolled: 1-line block ×3, first 2 shown]
	v_add_co_u32 v52, s0, v50, s2
	v_add_co_ci_u32_e64 v53, s0, s3, v51, s0
	global_load_dwordx2 v[13:14], v[13:14], off
	v_add_co_u32 v56, s0, v52, s2
	v_add_co_ci_u32_e64 v57, s0, s3, v53, s0
	global_load_dwordx2 v[54:55], v54, s[14:15]
	v_add_co_u32 v58, s0, v56, s2
	v_add_co_ci_u32_e64 v59, s0, s3, v57, s0
	s_clause 0x1
	global_load_dwordx2 v[50:51], v[50:51], off
	global_load_dwordx2 v[52:53], v[52:53], off
	v_add_co_u32 v60, s0, v58, s2
	global_load_dwordx2 v[56:57], v[56:57], off
	v_add_co_ci_u32_e64 v61, s0, s3, v59, s0
	global_load_dwordx2 v[62:63], v62, s[14:15]
	global_load_dwordx2 v[58:59], v[58:59], off
	global_load_dwordx2 v[64:65], v64, s[14:15]
	global_load_dwordx2 v[60:61], v[60:61], off
	v_mul_f32_e32 v33, v19, v2
	s_waitcnt vmcnt(23)
	v_mul_f32_e32 v70, v17, v6
	v_mul_f32_e32 v2, v18, v6
	s_waitcnt vmcnt(20)
	v_mul_f32_e32 v71, v11, v8
	v_mul_f32_e32 v4, v12, v8
	v_fma_f32 v67, v20, v1, -v33
	v_fma_f32 v3, v18, v5, -v70
	v_fmac_f32_e32 v2, v17, v5
	v_fma_f32 v5, v12, v7, -v71
	v_fmac_f32_e32 v4, v11, v7
	v_mul_f32_e32 v72, v21, v10
	v_mul_f32_e32 v6, v22, v10
	;; [unrolled: 1-line block ×4, first 2 shown]
	v_fma_f32 v7, v22, v9, -v72
	v_fmac_f32_e32 v6, v21, v9
	v_fmac_f32_e32 v8, v23, v31
	v_fma_f32 v9, v24, v31, -v74
	s_waitcnt vmcnt(18)
	v_mul_f32_e32 v10, v26, v35
	v_mul_f32_e32 v75, v25, v35
	v_fmac_f32_e32 v10, v25, v34
	v_fma_f32 v11, v26, v34, -v75
	s_waitcnt vmcnt(16)
	v_mul_f32_e32 v76, v27, v37
	v_mul_f32_e32 v32, v28, v37
	s_waitcnt vmcnt(14)
	v_mul_f32_e32 v1, v40, v39
	v_mul_f32_e32 v15, v41, v39
	;; [unrolled: 3-line block ×3, first 2 shown]
	v_fma_f32 v33, v28, v36, -v76
	v_fma_f32 v16, v41, v38, -v1
	v_fmac_f32_e32 v15, v40, v38
	ds_write2st64_b64 v86, v[66:67], v[68:69] offset1:2
	ds_write2st64_b64 v86, v[15:16], v[2:3] offset0:4 offset1:6
	v_fmac_f32_e32 v32, v27, v36
	v_fmac_f32_e32 v35, v29, v42
	v_fma_f32 v36, v30, v42, -v37
	s_waitcnt vmcnt(8)
	v_mul_f32_e32 v12, v13, v45
	v_mul_f32_e32 v17, v14, v45
	v_fma_f32 v18, v14, v44, -v12
	v_fmac_f32_e32 v17, v13, v44
	s_waitcnt vmcnt(6)
	v_mul_f32_e32 v1, v51, v47
	v_mul_f32_e32 v2, v50, v47
	ds_write2st64_b64 v86, v[17:18], v[4:5] offset0:8 offset1:10
	s_waitcnt vmcnt(5)
	v_mul_f32_e32 v3, v53, v49
	v_mul_f32_e32 v4, v52, v49
	s_waitcnt vmcnt(4)
	v_mul_f32_e32 v12, v57, v55
	v_mul_f32_e32 v5, v56, v55
	;; [unrolled: 3-line block ×4, first 2 shown]
	v_fmac_f32_e32 v1, v50, v46
	v_fma_f32 v2, v51, v46, -v2
	v_fmac_f32_e32 v3, v52, v48
	v_fma_f32 v4, v53, v48, -v4
	;; [unrolled: 2-line block ×5, first 2 shown]
	ds_write2st64_b64 v86, v[1:2], v[6:7] offset0:12 offset1:14
	ds_write2st64_b64 v86, v[3:4], v[8:9] offset0:16 offset1:18
	;; [unrolled: 1-line block ×5, first 2 shown]
.LBB0_3:
	s_or_b32 exec_lo, exec_lo, s1
	s_waitcnt lgkmcnt(0)
	s_barrier
	buffer_gl0_inv
                                        ; implicit-def: $vgpr29
                                        ; implicit-def: $vgpr15
                                        ; implicit-def: $vgpr23
                                        ; implicit-def: $vgpr19
                                        ; implicit-def: $vgpr27
                                        ; implicit-def: $vgpr31
                                        ; implicit-def: $vgpr7
                                        ; implicit-def: $vgpr3
                                        ; implicit-def: $vgpr11
	s_and_saveexec_b32 s0, vcc_lo
	s_cbranch_execz .LBB0_5
; %bb.4:
	v_or_b32_e32 v29, 0x1c00, v86
	v_or_b32_e32 v30, 0x3c00, v86
	ds_read2st64_b64 v[9:12], v86 offset1:2
	ds_read2st64_b64 v[1:4], v86 offset0:4 offset1:6
	ds_read2st64_b64 v[5:8], v86 offset0:8 offset1:10
	;; [unrolled: 1-line block ×6, first 2 shown]
	ds_read_b64 v[31:32], v29
	ds_read_b64 v[29:30], v30
.LBB0_5:
	s_or_b32 exec_lo, exec_lo, s0
	s_waitcnt lgkmcnt(4)
	v_sub_f32_e32 v25, v9, v25
	s_waitcnt lgkmcnt(2)
	v_sub_f32_e32 v22, v6, v22
	v_sub_f32_e32 v17, v1, v17
	;; [unrolled: 1-line block ×6, first 2 shown]
	v_fma_f32 v6, v6, 2.0, -v22
	v_sub_f32_e32 v15, v13, v15
	v_fma_f32 v14, v14, 2.0, -v16
	v_sub_f32_e32 v22, v25, v22
	v_sub_f32_e32 v16, v17, v16
	v_fma_f32 v9, v9, 2.0, -v25
	v_fma_f32 v5, v5, 2.0, -v21
	;; [unrolled: 1-line block ×4, first 2 shown]
	v_add_f32_e32 v21, v21, v26
	v_fma_f32 v25, v25, 2.0, -v22
	v_add_f32_e32 v15, v15, v18
	v_fma_f32 v17, v17, 2.0, -v16
	v_fma_f32 v10, v10, 2.0, -v26
	;; [unrolled: 1-line block ×3, first 2 shown]
	v_sub_f32_e32 v27, v11, v27
	v_sub_f32_e32 v28, v12, v28
	;; [unrolled: 1-line block ×6, first 2 shown]
	s_waitcnt lgkmcnt(0)
	v_sub_f32_e32 v29, v31, v29
	v_sub_f32_e32 v30, v32, v30
	v_fma_f32 v26, v26, 2.0, -v21
	v_fma_f32 v18, v18, 2.0, -v15
	v_fmamk_f32 v47, v17, 0xbf3504f3, v25
	v_fma_f32 v11, v11, 2.0, -v27
	v_fma_f32 v12, v12, 2.0, -v28
	;; [unrolled: 1-line block ×8, first 2 shown]
	v_sub_f32_e32 v24, v27, v24
	v_sub_f32_e32 v30, v19, v30
	v_add_f32_e32 v29, v29, v20
	v_fmamk_f32 v48, v18, 0xbf3504f3, v26
	v_fmac_f32_e32 v47, 0xbf3504f3, v18
	v_sub_f32_e32 v5, v9, v5
	v_sub_f32_e32 v6, v10, v6
	;; [unrolled: 1-line block ×6, first 2 shown]
	v_add_f32_e32 v23, v23, v28
	v_sub_f32_e32 v31, v3, v31
	v_sub_f32_e32 v32, v4, v32
	v_fma_f32 v27, v27, 2.0, -v24
	v_fma_f32 v19, v19, 2.0, -v30
	;; [unrolled: 1-line block ×3, first 2 shown]
	v_fmac_f32_e32 v48, 0x3f3504f3, v17
	v_fma_f32 v17, v25, 2.0, -v47
	v_fmamk_f32 v20, v16, 0x3f3504f3, v22
	v_fmamk_f32 v25, v15, 0x3f3504f3, v21
	v_fma_f32 v9, v9, 2.0, -v5
	v_fma_f32 v10, v10, 2.0, -v6
	v_fma_f32 v1, v1, 2.0, -v13
	v_fma_f32 v2, v2, 2.0, -v14
	v_fma_f32 v11, v11, 2.0, -v7
	v_fma_f32 v12, v12, 2.0, -v8
	v_fma_f32 v28, v28, 2.0, -v23
	v_fma_f32 v3, v3, 2.0, -v31
	v_fma_f32 v4, v4, 2.0, -v32
	v_fmac_f32_e32 v20, 0xbf3504f3, v15
	v_fmac_f32_e32 v25, 0x3f3504f3, v16
	v_fmamk_f32 v15, v19, 0xbf3504f3, v27
	v_sub_f32_e32 v1, v9, v1
	v_sub_f32_e32 v2, v10, v2
	v_fma_f32 v16, v22, 2.0, -v20
	v_sub_f32_e32 v3, v11, v3
	v_sub_f32_e32 v4, v12, v4
	v_fmamk_f32 v22, v18, 0xbf3504f3, v28
	v_fmac_f32_e32 v15, 0xbf3504f3, v18
	v_fma_f32 v18, v21, 2.0, -v25
	v_fmamk_f32 v21, v30, 0x3f3504f3, v24
	v_fmamk_f32 v58, v29, 0x3f3504f3, v23
	v_fma_f32 v9, v9, 2.0, -v1
	v_fma_f32 v10, v10, 2.0, -v2
	v_sub_f32_e32 v14, v5, v14
	v_add_f32_e32 v13, v13, v6
	v_fma_f32 v11, v11, 2.0, -v3
	v_fma_f32 v12, v12, 2.0, -v4
	v_fmac_f32_e32 v22, 0x3f3504f3, v19
	v_fma_f32 v19, v27, 2.0, -v15
	v_sub_f32_e32 v27, v7, v32
	v_add_f32_e32 v57, v31, v8
	v_fmac_f32_e32 v21, 0xbf3504f3, v29
	v_fmac_f32_e32 v58, 0x3f3504f3, v30
	v_fma_f32 v26, v26, 2.0, -v48
	v_fma_f32 v5, v5, 2.0, -v14
	;; [unrolled: 1-line block ×6, first 2 shown]
	v_sub_f32_e32 v37, v9, v11
	v_fma_f32 v11, v24, 2.0, -v21
	v_sub_f32_e32 v38, v10, v12
	v_fma_f32 v12, v23, 2.0, -v58
	v_fmamk_f32 v39, v19, 0xbf6c835e, v17
	v_fmamk_f32 v40, v28, 0xbf6c835e, v26
	;; [unrolled: 1-line block ×12, first 2 shown]
	v_fmac_f32_e32 v39, 0xbec3ef15, v28
	v_fmac_f32_e32 v40, 0x3ec3ef15, v19
	;; [unrolled: 1-line block ×6, first 2 shown]
	v_sub_f32_e32 v49, v1, v4
	v_add_f32_e32 v50, v3, v2
	v_fmac_f32_e32 v51, 0xbf6c835e, v22
	v_fmac_f32_e32 v52, 0x3f6c835e, v15
	;; [unrolled: 1-line block ×6, first 2 shown]
	v_fma_f32 v29, v9, 2.0, -v37
	v_fma_f32 v30, v10, 2.0, -v38
	;; [unrolled: 1-line block ×16, first 2 shown]
	v_lshlrev_b32_e32 v91, 7, v0
	s_barrier
	buffer_gl0_inv
	s_and_saveexec_b32 s0, vcc_lo
	s_cbranch_execz .LBB0_7
; %bb.6:
	ds_write_b128 v91, v[29:32]
	ds_write_b128 v91, v[33:36] offset:16
	ds_write_b128 v91, v[45:48] offset:32
	;; [unrolled: 1-line block ×7, first 2 shown]
.LBB0_7:
	s_or_b32 exec_lo, exec_lo, s0
	s_clause 0x1
	s_load_dwordx2 s[0:1], s[4:5], 0x20
	s_load_dwordx2 s[2:3], s[4:5], 0x8
	s_waitcnt lgkmcnt(0)
	s_barrier
	buffer_gl0_inv
	s_and_saveexec_b32 s4, vcc_lo
	s_cbranch_execz .LBB0_9
; %bb.8:
	v_or_b32_e32 v5, 0x1c00, v86
	ds_read2st64_b64 v[29:32], v86 offset1:2
	ds_read2st64_b64 v[33:36], v86 offset0:4 offset1:6
	ds_read2st64_b64 v[1:4], v86 offset0:12 offset1:28
	;; [unrolled: 1-line block ×3, first 2 shown]
	v_or_b32_e32 v6, 0x3c00, v86
	ds_read2st64_b64 v[37:40], v86 offset0:16 offset1:18
	ds_read2st64_b64 v[41:44], v86 offset0:20 offset1:22
	;; [unrolled: 1-line block ×3, first 2 shown]
	ds_read_b64 v[59:60], v5
	ds_read_b64 v[55:56], v6
	s_waitcnt lgkmcnt(6)
	v_mov_b32_e32 v53, v3
	v_mov_b32_e32 v54, v4
	;; [unrolled: 1-line block ×4, first 2 shown]
.LBB0_9:
	s_or_b32 exec_lo, exec_lo, s4
	v_and_b32_e32 v87, 15, v0
	v_mad_u64_u32 v[61:62], null, 0x78, v87, s[2:3]
	s_clause 0x7
	global_load_dwordx4 v[9:12], v[61:62], off
	global_load_dwordx4 v[5:8], v[61:62], off offset:16
	global_load_dwordx4 v[13:16], v[61:62], off offset:32
	;; [unrolled: 1-line block ×6, first 2 shown]
	global_load_dwordx2 v[74:75], v[61:62], off offset:112
	s_waitcnt vmcnt(0) lgkmcnt(0)
	s_barrier
	buffer_gl0_inv
	v_mul_f32_e32 v61, v34, v12
	v_mul_f32_e32 v62, v33, v12
	;; [unrolled: 1-line block ×30, first 2 shown]
	v_fma_f32 v33, v33, v11, -v61
	v_fmac_f32_e32 v62, v34, v11
	v_fma_f32 v34, v35, v5, -v63
	v_fmac_f32_e32 v64, v36, v5
	;; [unrolled: 2-line block ×15, first 2 shown]
	v_sub_f32_e32 v32, v29, v37
	v_sub_f32_e32 v37, v30, v77
	;; [unrolled: 1-line block ×16, first 2 shown]
	v_fma_f32 v54, v29, 2.0, -v32
	v_fma_f32 v55, v30, 2.0, -v37
	;; [unrolled: 1-line block ×5, first 2 shown]
	v_sub_f32_e32 v47, v32, v47
	v_add_f32_e32 v43, v49, v43
	v_sub_f32_e32 v48, v39, v48
	v_fma_f32 v35, v35, 2.0, -v41
	v_fma_f32 v58, v62, 2.0, -v49
	v_add_f32_e32 v41, v37, v41
	v_fma_f32 v33, v33, 2.0, -v39
	v_fma_f32 v59, v68, 2.0, -v51
	;; [unrolled: 1-line block ×4, first 2 shown]
	v_sub_f32_e32 v51, v38, v51
	v_add_f32_e32 v44, v53, v44
	v_sub_f32_e32 v52, v40, v52
	v_fma_f32 v36, v36, 2.0, -v42
	v_fma_f32 v61, v64, 2.0, -v53
	v_add_f32_e32 v42, v50, v42
	v_fma_f32 v34, v34, 2.0, -v40
	v_fma_f32 v62, v31, 2.0, -v38
	;; [unrolled: 1-line block ×4, first 2 shown]
	v_fmamk_f32 v29, v48, 0x3f3504f3, v47
	v_fmamk_f32 v30, v43, 0x3f3504f3, v41
	v_fma_f32 v39, v39, 2.0, -v48
	v_fma_f32 v53, v53, 2.0, -v44
	v_fmamk_f32 v64, v52, 0x3f3504f3, v51
	v_fmamk_f32 v65, v44, 0x3f3504f3, v42
	v_fma_f32 v40, v40, 2.0, -v52
	v_fma_f32 v66, v32, 2.0, -v47
	;; [unrolled: 1-line block ×5, first 2 shown]
	v_sub_f32_e32 v37, v54, v35
	v_sub_f32_e32 v38, v55, v56
	;; [unrolled: 1-line block ×8, first 2 shown]
	v_fmac_f32_e32 v29, 0xbf3504f3, v43
	v_fmac_f32_e32 v30, 0x3f3504f3, v48
	;; [unrolled: 1-line block ×4, first 2 shown]
	v_fmamk_f32 v31, v39, 0xbf3504f3, v66
	v_fmamk_f32 v32, v49, 0xbf3504f3, v67
	v_fmamk_f32 v59, v40, 0xbf3504f3, v68
	v_fmamk_f32 v60, v53, 0xbf3504f3, v71
	v_fma_f32 v48, v54, 2.0, -v37
	v_fma_f32 v54, v55, 2.0, -v38
	;; [unrolled: 1-line block ×6, first 2 shown]
	v_sub_f32_e32 v33, v37, v45
	v_sub_f32_e32 v45, v50, v46
	v_fma_f32 v52, v62, 2.0, -v50
	v_fma_f32 v34, v34, 2.0, -v36
	v_add_f32_e32 v35, v38, v35
	v_add_f32_e32 v58, v56, v36
	v_fmac_f32_e32 v31, 0xbf3504f3, v49
	v_fmac_f32_e32 v32, 0x3f3504f3, v39
	;; [unrolled: 1-line block ×4, first 2 shown]
	v_sub_f32_e32 v49, v55, v43
	v_fmamk_f32 v43, v45, 0x3f3504f3, v33
	v_fma_f32 v61, v50, 2.0, -v45
	v_fmamk_f32 v69, v64, 0x3f6c835e, v29
	v_fmamk_f32 v70, v65, 0x3f6c835e, v30
	v_fma_f32 v37, v37, 2.0, -v33
	v_sub_f32_e32 v39, v52, v34
	v_sub_f32_e32 v34, v48, v44
	v_sub_f32_e32 v36, v54, v57
	v_fmamk_f32 v44, v58, 0x3f3504f3, v35
	v_fma_f32 v53, v56, 2.0, -v58
	v_fma_f32 v62, v42, 2.0, -v65
	;; [unrolled: 1-line block ×7, first 2 shown]
	v_fmac_f32_e32 v43, 0xbf3504f3, v58
	v_fmac_f32_e32 v69, 0xbec3ef15, v65
	;; [unrolled: 1-line block ×3, first 2 shown]
	v_fmamk_f32 v55, v61, 0xbf3504f3, v37
	v_fma_f32 v64, v71, 2.0, -v60
	v_fma_f32 v65, v68, 2.0, -v59
	;; [unrolled: 1-line block ×5, first 2 shown]
	v_sub_f32_e32 v51, v34, v49
	v_add_f32_e32 v52, v36, v39
	v_fmac_f32_e32 v44, 0x3f3504f3, v45
	v_fma_f32 v39, v48, 2.0, -v34
	v_fma_f32 v45, v54, 2.0, -v36
	v_fmamk_f32 v56, v53, 0xbf3504f3, v38
	v_fmamk_f32 v49, v63, 0xbec3ef15, v40
	;; [unrolled: 1-line block ×5, first 2 shown]
	v_fmac_f32_e32 v55, 0xbf3504f3, v53
	v_fmamk_f32 v53, v65, 0xbf6c835e, v57
	v_fmamk_f32 v54, v64, 0xbf6c835e, v58
	v_sub_f32_e32 v47, v39, v47
	v_sub_f32_e32 v48, v45, v72
	v_fmac_f32_e32 v56, 0x3f3504f3, v61
	v_fmac_f32_e32 v49, 0xbf6c835e, v62
	;; [unrolled: 1-line block ×7, first 2 shown]
	v_lshlrev_b32_e32 v96, 4, v0
	s_and_saveexec_b32 s4, vcc_lo
	s_cbranch_execz .LBB0_11
; %bb.10:
	v_fma_f32 v59, v36, 2.0, -v52
	v_and_or_b32 v36, 0x700, v96, v87
	v_fma_f32 v60, v40, 2.0, -v49
	v_fma_f32 v63, v58, 2.0, -v54
	;; [unrolled: 1-line block ×5, first 2 shown]
	v_lshlrev_b32_e32 v36, 3, v36
	v_fma_f32 v61, v46, 2.0, -v50
	v_fma_f32 v38, v38, 2.0, -v56
	;; [unrolled: 1-line block ×10, first 2 shown]
	ds_write2_b64 v36, v[39:40], v[62:63] offset1:16
	ds_write2_b64 v36, v[37:38], v[60:61] offset0:32 offset1:48
	ds_write2_b64 v36, v[58:59], v[31:32] offset0:64 offset1:80
	;; [unrolled: 1-line block ×7, first 2 shown]
.LBB0_11:
	s_or_b32 exec_lo, exec_lo, s4
	v_mad_u64_u32 v[45:46], null, v0, 56, s[2:3]
	s_load_dwordx4 s[0:3], s[0:1], 0x0
	s_waitcnt lgkmcnt(0)
	s_barrier
	buffer_gl0_inv
	v_or_b32_e32 v71, 0x300, v0
	v_or_b32_e32 v72, 0x400, v0
	s_clause 0x3
	global_load_dwordx4 v[37:40], v[45:46], off offset:1920
	global_load_dwordx4 v[33:36], v[45:46], off offset:1936
	global_load_dwordx4 v[29:32], v[45:46], off offset:1952
	global_load_dwordx2 v[76:77], v[45:46], off offset:1968
	ds_read2st64_b64 v[57:60], v86 offset1:4
	ds_read2st64_b64 v[61:64], v86 offset0:8 offset1:12
	ds_read2st64_b64 v[65:68], v86 offset0:16 offset1:20
	;; [unrolled: 1-line block ×3, first 2 shown]
	v_or_b32_e32 v45, 0x100, v0
	v_or_b32_e32 v46, 0x200, v0
	;; [unrolled: 1-line block ×4, first 2 shown]
	v_lshlrev_b32_e32 v93, 3, v71
	v_lshlrev_b32_e32 v95, 3, v45
	;; [unrolled: 1-line block ×6, first 2 shown]
	v_or_b32_e32 v101, 0x700, v0
	s_waitcnt vmcnt(3) lgkmcnt(3)
	v_mul_f32_e32 v45, v60, v38
	v_mul_f32_e32 v46, v59, v38
	s_waitcnt lgkmcnt(2)
	v_mul_f32_e32 v71, v62, v40
	v_mul_f32_e32 v72, v61, v40
	s_waitcnt vmcnt(2)
	v_mul_f32_e32 v90, v64, v34
	v_mul_f32_e32 v102, v63, v34
	s_waitcnt lgkmcnt(1)
	v_mul_f32_e32 v103, v66, v36
	v_mul_f32_e32 v104, v65, v36
	s_waitcnt vmcnt(1)
	;; [unrolled: 6-line block ×3, first 2 shown]
	v_mul_f32_e32 v109, v100, v77
	v_mul_f32_e32 v110, v99, v77
	v_fma_f32 v45, v59, v37, -v45
	v_fmac_f32_e32 v46, v60, v37
	v_fma_f32 v59, v61, v39, -v71
	v_fmac_f32_e32 v72, v62, v39
	;; [unrolled: 2-line block ×7, first 2 shown]
	v_sub_f32_e32 v61, v57, v61
	v_sub_f32_e32 v65, v58, v104
	v_sub_f32_e32 v63, v59, v63
	v_sub_f32_e32 v66, v72, v108
	v_sub_f32_e32 v62, v45, v62
	v_sub_f32_e32 v67, v46, v106
	v_sub_f32_e32 v64, v60, v64
	v_sub_f32_e32 v68, v102, v110
	v_fma_f32 v57, v57, 2.0, -v61
	v_fma_f32 v58, v58, 2.0, -v65
	;; [unrolled: 1-line block ×8, first 2 shown]
	v_sub_f32_e32 v66, v61, v66
	v_add_f32_e32 v90, v65, v63
	v_sub_f32_e32 v68, v62, v68
	v_add_f32_e32 v97, v67, v64
	v_sub_f32_e32 v59, v57, v59
	v_sub_f32_e32 v98, v58, v71
	v_fma_f32 v99, v61, 2.0, -v66
	v_fma_f32 v100, v65, 2.0, -v90
	v_sub_f32_e32 v60, v45, v60
	v_sub_f32_e32 v61, v46, v72
	v_fma_f32 v65, v62, 2.0, -v68
	v_fma_f32 v67, v67, 2.0, -v97
	v_fmamk_f32 v71, v68, 0x3f3504f3, v66
	v_fmamk_f32 v72, v97, 0x3f3504f3, v90
	v_fma_f32 v102, v57, 2.0, -v59
	v_fma_f32 v103, v58, 2.0, -v98
	;; [unrolled: 1-line block ×4, first 2 shown]
	v_fmamk_f32 v63, v65, 0xbf3504f3, v99
	v_fmamk_f32 v64, v67, 0xbf3504f3, v100
	v_sub_f32_e32 v45, v59, v61
	v_add_f32_e32 v46, v98, v60
	v_fmac_f32_e32 v71, 0xbf3504f3, v97
	v_fmac_f32_e32 v72, 0x3f3504f3, v68
	v_sub_f32_e32 v61, v102, v57
	v_sub_f32_e32 v62, v103, v58
	v_fmac_f32_e32 v63, 0xbf3504f3, v67
	v_fmac_f32_e32 v64, 0x3f3504f3, v65
	v_fma_f32 v57, v59, 2.0, -v45
	v_fma_f32 v58, v98, 2.0, -v46
	;; [unrolled: 1-line block ×8, first 2 shown]
	v_lshlrev_b32_e32 v90, 3, v101
	ds_write2st64_b64 v86, v[45:46], v[71:72] offset0:24 offset1:28
	ds_write2st64_b64 v86, v[57:58], v[59:60] offset0:8 offset1:12
	;; [unrolled: 1-line block ×3, first 2 shown]
	ds_write2st64_b64 v86, v[65:66], v[67:68] offset1:4
	s_waitcnt lgkmcnt(0)
	s_barrier
	buffer_gl0_inv
	s_and_saveexec_b32 s6, vcc_lo
	s_cbranch_execz .LBB0_13
; %bb.12:
	v_or_b32_e32 v97, 0xc00, v86
	v_or_b32_e32 v98, 0x1400, v86
	s_add_u32 s4, s14, 0x4000
	s_addc_u32 s5, s15, 0
	s_clause 0xa
	global_load_dwordx2 v[129:130], v86, s[4:5]
	global_load_dwordx2 v[131:132], v86, s[4:5] offset:1024
	global_load_dwordx2 v[133:134], v95, s[4:5]
	global_load_dwordx2 v[135:136], v94, s[4:5]
	;; [unrolled: 1-line block ×9, first 2 shown]
	v_or_b32_e32 v99, 0x1c00, v86
	v_or_b32_e32 v97, 0x2400, v86
	;; [unrolled: 1-line block ×3, first 2 shown]
	s_clause 0x1
	global_load_dwordx2 v[151:152], v99, s[4:5]
	global_load_dwordx2 v[153:154], v97, s[4:5]
	v_or_b32_e32 v99, 0x3400, v86
	v_or_b32_e32 v97, 0x3c00, v86
	s_clause 0x2
	global_load_dwordx2 v[155:156], v98, s[4:5]
	global_load_dwordx2 v[157:158], v99, s[4:5]
	;; [unrolled: 1-line block ×3, first 2 shown]
	ds_read2st64_b64 v[97:100], v86 offset1:2
	ds_read2st64_b64 v[101:104], v86 offset0:4 offset1:6
	ds_read2st64_b64 v[105:108], v86 offset0:8 offset1:10
	;; [unrolled: 1-line block ×7, first 2 shown]
	s_waitcnt vmcnt(15) lgkmcnt(7)
	v_mul_f32_e32 v162, v98, v130
	v_mul_f32_e32 v161, v97, v130
	s_waitcnt vmcnt(14)
	v_mul_f32_e32 v163, v100, v132
	v_mul_f32_e32 v130, v99, v132
	s_waitcnt vmcnt(13) lgkmcnt(6)
	v_mul_f32_e32 v164, v102, v134
	v_mul_f32_e32 v132, v101, v134
	s_waitcnt vmcnt(12) lgkmcnt(5)
	;; [unrolled: 3-line block ×7, first 2 shown]
	v_mul_f32_e32 v170, v126, v146
	v_mul_f32_e32 v144, v125, v146
	s_waitcnt vmcnt(6)
	v_mul_f32_e32 v171, v104, v148
	v_mul_f32_e32 v146, v103, v148
	s_waitcnt vmcnt(5)
	;; [unrolled: 3-line block ×7, first 2 shown]
	v_mul_f32_e32 v177, v128, v160
	v_mul_f32_e32 v158, v127, v160
	v_fma_f32 v160, v97, v129, -v162
	v_fmac_f32_e32 v161, v98, v129
	v_fma_f32 v129, v99, v131, -v163
	v_fmac_f32_e32 v130, v100, v131
	;; [unrolled: 2-line block ×16, first 2 shown]
	ds_write2st64_b64 v86, v[160:161], v[129:130] offset1:2
	ds_write2st64_b64 v86, v[131:132], v[145:146] offset0:4 offset1:6
	ds_write2st64_b64 v86, v[133:134], v[147:148] offset0:8 offset1:10
	;; [unrolled: 1-line block ×7, first 2 shown]
.LBB0_13:
	s_or_b32 exec_lo, exec_lo, s6
	s_waitcnt lgkmcnt(0)
	s_barrier
	buffer_gl0_inv
	s_and_saveexec_b32 s4, vcc_lo
	s_cbranch_execz .LBB0_15
; %bb.14:
	v_or_b32_e32 v69, 0x1c00, v86
	v_or_b32_e32 v70, 0x3c00, v86
	ds_read2st64_b64 v[65:68], v86 offset1:2
	ds_read2st64_b64 v[57:60], v86 offset0:4 offset1:6
	ds_read2st64_b64 v[61:64], v86 offset0:8 offset1:10
	;; [unrolled: 1-line block ×6, first 2 shown]
	ds_read_b64 v[71:72], v69
	ds_read_b64 v[69:70], v70
.LBB0_15:
	s_or_b32 exec_lo, exec_lo, s4
	s_waitcnt lgkmcnt(5)
	v_sub_f32_e32 v48, v66, v48
	s_waitcnt lgkmcnt(3)
	v_sub_f32_e32 v52, v62, v52
	v_sub_f32_e32 v56, v58, v56
	s_waitcnt lgkmcnt(2)
	v_sub_f32_e32 v44, v46, v44
	v_sub_f32_e32 v47, v65, v47
	;; [unrolled: 1-line block ×4, first 2 shown]
	v_fma_f32 v66, v66, 2.0, -v48
	v_fma_f32 v62, v62, 2.0, -v52
	v_sub_f32_e32 v43, v45, v43
	v_fma_f32 v58, v58, 2.0, -v56
	v_fma_f32 v46, v46, 2.0, -v44
	;; [unrolled: 1-line block ×5, first 2 shown]
	v_sub_f32_e32 v53, v67, v53
	v_sub_f32_e32 v54, v68, v54
	v_fma_f32 v45, v45, 2.0, -v43
	v_sub_f32_e32 v41, v63, v41
	v_sub_f32_e32 v42, v64, v42
	;; [unrolled: 1-line block ×4, first 2 shown]
	s_waitcnt lgkmcnt(0)
	v_sub_f32_e32 v69, v71, v69
	v_sub_f32_e32 v70, v72, v70
	;; [unrolled: 1-line block ×4, first 2 shown]
	v_fma_f32 v67, v67, 2.0, -v53
	v_fma_f32 v63, v63, 2.0, -v41
	;; [unrolled: 1-line block ×5, first 2 shown]
	v_sub_f32_e32 v61, v65, v61
	v_fma_f32 v72, v72, 2.0, -v70
	v_add_f32_e32 v52, v52, v47
	v_sub_f32_e32 v51, v48, v51
	v_fma_f32 v66, v66, 2.0, -v62
	v_sub_f32_e32 v45, v57, v45
	v_add_f32_e32 v44, v44, v55
	v_sub_f32_e32 v43, v56, v43
	v_fma_f32 v58, v58, 2.0, -v46
	v_add_f32_e32 v42, v42, v53
	v_sub_f32_e32 v41, v54, v41
	v_add_f32_e32 v70, v70, v49
	v_sub_f32_e32 v69, v50, v69
	v_fma_f32 v68, v68, 2.0, -v54
	v_fma_f32 v60, v60, 2.0, -v50
	v_fma_f32 v65, v65, 2.0, -v61
	v_fma_f32 v47, v47, 2.0, -v52
	v_fma_f32 v48, v48, 2.0, -v51
	v_fma_f32 v57, v57, 2.0, -v45
	v_sub_f32_e32 v63, v67, v63
	v_fma_f32 v55, v55, 2.0, -v44
	v_fma_f32 v56, v56, 2.0, -v43
	v_sub_f32_e32 v71, v59, v71
	v_fma_f32 v53, v53, 2.0, -v42
	v_fma_f32 v54, v54, 2.0, -v41
	;; [unrolled: 1-line block ×3, first 2 shown]
	v_sub_f32_e32 v99, v66, v58
	v_fma_f32 v50, v50, 2.0, -v69
	v_sub_f32_e32 v64, v68, v64
	v_fma_f32 v67, v67, 2.0, -v63
	;; [unrolled: 2-line block ×3, first 2 shown]
	v_fmamk_f32 v97, v55, 0xbf3504f3, v47
	v_sub_f32_e32 v98, v65, v57
	v_fmamk_f32 v100, v56, 0xbf3504f3, v48
	v_fma_f32 v57, v66, 2.0, -v99
	v_fmamk_f32 v104, v43, 0x3f3504f3, v51
	v_fmamk_f32 v66, v49, 0xbf3504f3, v53
	;; [unrolled: 1-line block ×3, first 2 shown]
	v_fma_f32 v68, v68, 2.0, -v64
	v_fma_f32 v60, v60, 2.0, -v72
	v_fmac_f32_e32 v97, 0x3f3504f3, v56
	v_fmac_f32_e32 v100, 0xbf3504f3, v55
	v_fmamk_f32 v101, v44, 0x3f3504f3, v52
	v_fmac_f32_e32 v104, 0xbf3504f3, v44
	v_sub_f32_e32 v105, v67, v59
	v_fmac_f32_e32 v66, 0x3f3504f3, v50
	v_fmac_f32_e32 v107, 0xbf3504f3, v49
	v_fmamk_f32 v108, v70, 0x3f3504f3, v42
	v_fma_f32 v56, v65, 2.0, -v98
	v_fma_f32 v55, v47, 2.0, -v97
	;; [unrolled: 1-line block ×3, first 2 shown]
	v_fmac_f32_e32 v101, 0x3f3504f3, v43
	v_sub_f32_e32 v106, v68, v60
	v_fma_f32 v50, v51, 2.0, -v104
	v_fma_f32 v43, v67, 2.0, -v105
	;; [unrolled: 1-line block ×3, first 2 shown]
	v_add_f32_e32 v72, v72, v63
	v_fmamk_f32 v109, v69, 0x3f3504f3, v41
	v_fma_f32 v51, v54, 2.0, -v107
	v_fmac_f32_e32 v108, 0x3f3504f3, v69
	v_add_f32_e32 v102, v46, v61
	v_sub_f32_e32 v103, v62, v45
	v_fma_f32 v52, v52, 2.0, -v101
	v_fma_f32 v44, v68, 2.0, -v106
	v_sub_f32_e32 v71, v64, v71
	v_fma_f32 v53, v63, 2.0, -v72
	v_fmac_f32_e32 v109, 0xbf3504f3, v70
	v_sub_f32_e32 v45, v56, v43
	v_fma_f32 v63, v42, 2.0, -v108
	v_fmamk_f32 v47, v49, 0xbf6c835e, v55
	v_fmamk_f32 v48, v51, 0xbf6c835e, v65
	v_fma_f32 v61, v61, 2.0, -v102
	v_fma_f32 v62, v62, 2.0, -v103
	;; [unrolled: 1-line block ×3, first 2 shown]
	v_sub_f32_e32 v46, v57, v44
	v_fma_f32 v44, v41, 2.0, -v109
	v_fma_f32 v41, v56, 2.0, -v45
	v_fmac_f32_e32 v47, 0x3ec3ef15, v51
	v_fmac_f32_e32 v48, 0xbec3ef15, v49
	v_fmamk_f32 v59, v63, 0xbec3ef15, v52
	v_fmamk_f32 v56, v107, 0x3ec3ef15, v100
	v_fma_f32 v42, v57, 2.0, -v46
	v_fmamk_f32 v57, v53, 0xbf3504f3, v61
	v_fmamk_f32 v58, v54, 0xbf3504f3, v62
	v_fma_f32 v43, v55, 2.0, -v47
	v_fmamk_f32 v60, v44, 0xbec3ef15, v50
	v_fmac_f32_e32 v59, 0x3f6c835e, v44
	v_fma_f32 v44, v65, 2.0, -v48
	v_fmamk_f32 v55, v66, 0x3ec3ef15, v97
	v_fmac_f32_e32 v56, 0xbf6c835e, v66
	v_fmamk_f32 v65, v72, 0x3f3504f3, v102
	v_fmamk_f32 v66, v71, 0x3f3504f3, v103
	;; [unrolled: 1-line block ×4, first 2 shown]
	v_fmac_f32_e32 v57, 0x3f3504f3, v54
	v_fmac_f32_e32 v58, 0xbf3504f3, v53
	;; [unrolled: 1-line block ×3, first 2 shown]
	v_add_f32_e32 v53, v106, v98
	v_sub_f32_e32 v54, v99, v105
	v_fmac_f32_e32 v55, 0x3f6c835e, v107
	v_fmac_f32_e32 v65, 0x3f3504f3, v71
	;; [unrolled: 1-line block ×5, first 2 shown]
	v_fma_f32 v61, v61, 2.0, -v57
	v_fma_f32 v62, v62, 2.0, -v58
	;; [unrolled: 1-line block ×12, first 2 shown]
	s_barrier
	buffer_gl0_inv
	s_and_saveexec_b32 s4, vcc_lo
	s_cbranch_execz .LBB0_17
; %bb.16:
	ds_write_b128 v91, v[41:44]
	ds_write_b128 v91, v[61:64] offset:16
	ds_write_b128 v91, v[49:52] offset:32
	ds_write_b128 v91, v[69:72] offset:48
	ds_write_b128 v91, v[45:48] offset:64
	ds_write_b128 v91, v[57:60] offset:80
	ds_write_b128 v91, v[53:56] offset:96
	ds_write_b128 v91, v[65:68] offset:112
.LBB0_17:
	s_or_b32 exec_lo, exec_lo, s4
	s_waitcnt lgkmcnt(0)
	s_barrier
	buffer_gl0_inv
	s_and_saveexec_b32 s4, vcc_lo
	s_cbranch_execz .LBB0_19
; %bb.18:
	ds_read2st64_b64 v[45:48], v86 offset0:26 offset1:28
	ds_read2st64_b64 v[57:60], v86 offset0:22 offset1:24
	;; [unrolled: 1-line block ×4, first 2 shown]
	v_or_b32_e32 v53, 0x1c00, v86
	v_or_b32_e32 v54, 0x3c00, v86
	ds_read2st64_b64 v[41:44], v86 offset1:2
	ds_read2st64_b64 v[61:64], v86 offset0:4 offset1:6
	ds_read2st64_b64 v[49:52], v86 offset0:8 offset1:10
	ds_read_b64 v[71:72], v53
	ds_read_b64 v[67:68], v54
	s_waitcnt lgkmcnt(8)
	v_mov_b32_e32 v65, v47
	v_mov_b32_e32 v66, v48
	v_mov_b32_e32 v55, v45
	v_mov_b32_e32 v56, v46
	s_waitcnt lgkmcnt(7)
	v_mov_b32_e32 v53, v59
	v_mov_b32_e32 v54, v60
	v_mov_b32_e32 v59, v57
	v_mov_b32_e32 v60, v58
	;; [unrolled: 5-line block ×4, first 2 shown]
.LBB0_19:
	s_or_b32 exec_lo, exec_lo, s4
	s_waitcnt lgkmcnt(0)
	s_barrier
	buffer_gl0_inv
	s_and_saveexec_b32 s4, vcc_lo
	s_cbranch_execz .LBB0_21
; %bb.20:
	v_mul_f32_e32 v98, v16, v70
	v_mul_f32_e32 v99, v28, v66
	;; [unrolled: 1-line block ×5, first 2 shown]
	v_fmac_f32_e32 v98, v15, v69
	v_fmac_f32_e32 v99, v27, v65
	v_fma_f32 v15, v15, v70, -v16
	v_fma_f32 v16, v27, v66, -v28
	v_mul_f32_e32 v28, v75, v68
	v_mul_f32_e32 v12, v12, v62
	;; [unrolled: 1-line block ×5, first 2 shown]
	v_fmac_f32_e32 v28, v74, v67
	v_mul_f32_e32 v67, v75, v67
	v_fma_f32 v91, v11, v62, -v91
	v_mul_f32_e32 v20, v20, v58
	v_fmac_f32_e32 v12, v11, v61
	v_mul_f32_e32 v11, v6, v63
	v_fmac_f32_e32 v27, v1, v71
	v_mul_f32_e32 v61, v18, v47
	v_mul_f32_e32 v6, v6, v64
	v_fma_f32 v1, v1, v72, -v2
	v_fma_f32 v2, v74, v68, -v67
	v_mul_f32_e32 v18, v18, v48
	v_fma_f32 v97, v19, v58, -v97
	v_mul_f32_e32 v100, v4, v45
	v_mul_f32_e32 v101, v8, v50
	v_mul_f32_e32 v102, v24, v54
	v_fmac_f32_e32 v20, v19, v57
	v_mul_f32_e32 v19, v22, v59
	v_fma_f32 v11, v5, v64, -v11
	v_mul_f32_e32 v57, v10, v43
	v_mul_f32_e32 v62, v14, v52
	;; [unrolled: 1-line block ×3, first 2 shown]
	v_fma_f32 v61, v17, v48, -v61
	v_fmac_f32_e32 v6, v5, v63
	v_mul_f32_e32 v5, v22, v60
	v_mul_f32_e32 v14, v14, v51
	;; [unrolled: 1-line block ×3, first 2 shown]
	v_fmac_f32_e32 v18, v17, v47
	v_sub_f32_e32 v17, v1, v2
	v_mul_f32_e32 v2, v8, v49
	v_mul_f32_e32 v8, v24, v53
	v_mul_f32_e32 v4, v4, v46
	v_fma_f32 v100, v3, v46, -v100
	v_fmac_f32_e32 v101, v7, v49
	v_fmac_f32_e32 v102, v23, v53
	v_fma_f32 v19, v21, v60, -v19
	v_fma_f32 v57, v9, v44, -v57
	v_fmac_f32_e32 v62, v13, v51
	v_fmac_f32_e32 v65, v25, v55
	v_mul_f32_e32 v10, v10, v44
	v_fmac_f32_e32 v5, v21, v59
	v_fma_f32 v13, v13, v52, -v14
	v_fma_f32 v14, v25, v56, -v22
	;; [unrolled: 1-line block ×4, first 2 shown]
	v_fmac_f32_e32 v4, v3, v45
	v_sub_f32_e32 v97, v91, v97
	v_sub_f32_e32 v99, v98, v99
	;; [unrolled: 1-line block ×9, first 2 shown]
	v_fmac_f32_e32 v10, v9, v43
	v_sub_f32_e32 v5, v6, v5
	v_sub_f32_e32 v14, v13, v14
	;; [unrolled: 1-line block ×10, first 2 shown]
	v_add_f32_e32 v24, v3, v8
	v_fma_f32 v26, v42, 2.0, -v100
	v_fma_f32 v3, v7, 2.0, -v3
	;; [unrolled: 1-line block ×8, first 2 shown]
	v_fmamk_f32 v58, v103, 0x3f3504f3, v104
	v_add_f32_e32 v66, v16, v20
	v_fmamk_f32 v9, v64, 0x3f3504f3, v69
	v_add_f32_e32 v21, v17, v5
	v_add_f32_e32 v22, v14, v18
	v_sub_f32_e32 v13, v26, v3
	v_sub_f32_e32 v27, v42, v4
	;; [unrolled: 1-line block ×4, first 2 shown]
	v_fma_f32 v44, v11, 2.0, -v19
	v_fma_f32 v3, v1, 2.0, -v17
	;; [unrolled: 1-line block ×4, first 2 shown]
	v_fmac_f32_e32 v58, 0xbf3504f3, v66
	v_fmac_f32_e32 v9, 0xbf3504f3, v21
	v_fmamk_f32 v23, v21, 0x3f3504f3, v22
	v_fmamk_f32 v25, v66, 0x3f3504f3, v24
	v_sub_f32_e32 v17, v13, v27
	v_sub_f32_e32 v45, v28, v14
	;; [unrolled: 1-line block ×4, first 2 shown]
	v_fma_f32 v11, v91, 2.0, -v97
	v_fma_f32 v3, v15, 2.0, -v16
	;; [unrolled: 1-line block ×5, first 2 shown]
	v_fmamk_f32 v2, v9, 0x3f6c835e, v58
	v_fmac_f32_e32 v23, 0x3f3504f3, v64
	v_fmac_f32_e32 v25, 0x3f3504f3, v103
	v_fmamk_f32 v6, v45, 0x3f3504f3, v17
	v_add_f32_e32 v48, v46, v47
	v_sub_f32_e32 v15, v11, v3
	v_fma_f32 v49, v61, 2.0, -v69
	v_fma_f32 v19, v19, 2.0, -v64
	;; [unrolled: 1-line block ×4, first 2 shown]
	v_sub_f32_e32 v55, v16, v8
	v_fmac_f32_e32 v2, 0xbec3ef15, v23
	v_fmamk_f32 v1, v23, 0x3f6c835e, v25
	v_fma_f32 v41, v100, 2.0, -v104
	v_fma_f32 v3, v97, 2.0, -v103
	;; [unrolled: 1-line block ×3, first 2 shown]
	v_fmamk_f32 v52, v19, 0xbf3504f3, v49
	v_fmamk_f32 v53, v5, 0xbf3504f3, v21
	v_fmac_f32_e32 v6, 0xbf3504f3, v48
	v_add_f32_e32 v56, v15, v55
	v_fma_f32 v57, v10, 2.0, -v47
	v_fma_f32 v10, v12, 2.0, -v14
	;; [unrolled: 1-line block ×3, first 2 shown]
	v_fmac_f32_e32 v1, 0x3ec3ef15, v9
	v_fmamk_f32 v51, v3, 0xbf3504f3, v41
	v_fmamk_f32 v54, v7, 0xbf3504f3, v50
	v_fmac_f32_e32 v52, 0xbf3504f3, v5
	v_fmac_f32_e32 v53, 0x3f3504f3, v19
	v_fma_f32 v19, v26, 2.0, -v13
	v_fma_f32 v11, v11, 2.0, -v15
	v_fmamk_f32 v5, v48, 0x3f3504f3, v56
	v_sub_f32_e32 v60, v57, v10
	v_fma_f32 v10, v17, 2.0, -v6
	v_fma_f32 v26, v104, 2.0, -v58
	;; [unrolled: 1-line block ×11, first 2 shown]
	v_fmac_f32_e32 v51, 0xbf3504f3, v7
	v_fmac_f32_e32 v54, 0x3f3504f3, v3
	v_fma_f32 v3, v25, 2.0, -v1
	v_fmac_f32_e32 v5, 0x3f3504f3, v45
	v_fmamk_f32 v16, v9, 0xbec3ef15, v26
	v_sub_f32_e32 v45, v58, v15
	v_sub_f32_e32 v42, v27, v18
	v_fmamk_f32 v15, v20, 0xbec3ef15, v23
	v_fmamk_f32 v18, v28, 0xbf3504f3, v17
	v_fma_f32 v25, v47, 2.0, -v48
	v_sub_f32_e32 v59, v19, v11
	v_fmac_f32_e32 v16, 0xbf6c835e, v20
	v_fmac_f32_e32 v15, 0x3f6c835e, v9
	v_fma_f32 v9, v55, 2.0, -v56
	v_fmac_f32_e32 v18, 0xbf3504f3, v25
	v_fma_f32 v41, v41, 2.0, -v51
	v_fma_f32 v43, v49, 2.0, -v52
	;; [unrolled: 1-line block ×7, first 2 shown]
	v_fmamk_f32 v17, v25, 0xbf3504f3, v9
	v_fmamk_f32 v26, v43, 0xbf6c835e, v41
	;; [unrolled: 1-line block ×3, first 2 shown]
	v_fma_f32 v19, v19, 2.0, -v59
	v_fma_f32 v23, v27, 2.0, -v42
	;; [unrolled: 1-line block ×4, first 2 shown]
	v_fmamk_f32 v8, v52, 0x3ec3ef15, v51
	v_fmamk_f32 v7, v53, 0x3ec3ef15, v54
	v_fmac_f32_e32 v17, 0x3f3504f3, v28
	v_fmac_f32_e32 v26, 0xbec3ef15, v44
	;; [unrolled: 1-line block ×3, first 2 shown]
	v_sub_f32_e32 v28, v19, v23
	v_sub_f32_e32 v27, v47, v27
	v_and_or_b32 v23, 0x700, v96, v87
	v_fmac_f32_e32 v8, 0xbf6c835e, v53
	v_fmac_f32_e32 v7, 0x3f6c835e, v52
	v_sub_f32_e32 v14, v59, v60
	v_add_f32_e32 v13, v45, v42
	v_fma_f32 v42, v41, 2.0, -v26
	v_fma_f32 v41, v46, 2.0, -v25
	;; [unrolled: 1-line block ×4, first 2 shown]
	v_lshlrev_b32_e32 v46, 3, v23
	v_fma_f32 v23, v9, 2.0, -v17
	v_fma_f32 v12, v51, 2.0, -v8
	;; [unrolled: 1-line block ×6, first 2 shown]
	ds_write2_b64 v46, v[43:44], v[41:42] offset1:16
	ds_write2_b64 v46, v[23:24], v[21:22] offset0:32 offset1:48
	ds_write2_b64 v46, v[19:20], v[11:12] offset0:64 offset1:80
	;; [unrolled: 1-line block ×7, first 2 shown]
.LBB0_21:
	s_or_b32 exec_lo, exec_lo, s4
	s_waitcnt lgkmcnt(0)
	s_barrier
	buffer_gl0_inv
	ds_read2st64_b64 v[1:4], v86 offset1:4
	ds_read2st64_b64 v[5:8], v86 offset0:8 offset1:12
	ds_read2st64_b64 v[9:12], v86 offset0:16 offset1:20
	;; [unrolled: 1-line block ×3, first 2 shown]
	s_waitcnt lgkmcnt(3)
	v_mul_f32_e32 v17, v38, v4
	v_mul_f32_e32 v18, v38, v3
	s_waitcnt lgkmcnt(1)
	v_mul_f32_e32 v23, v36, v10
	v_mul_f32_e32 v20, v40, v5
	;; [unrolled: 1-line block ×5, first 2 shown]
	v_fmac_f32_e32 v23, v35, v9
	s_waitcnt lgkmcnt(0)
	v_mul_f32_e32 v9, v32, v13
	v_mul_f32_e32 v19, v40, v6
	;; [unrolled: 1-line block ×4, first 2 shown]
	v_fmac_f32_e32 v17, v37, v3
	v_fma_f32 v3, v37, v4, -v18
	v_fma_f32 v4, v39, v6, -v20
	v_fmac_f32_e32 v21, v33, v7
	v_fma_f32 v6, v35, v10, -v24
	v_fmac_f32_e32 v25, v29, v11
	v_mul_f32_e32 v7, v32, v14
	v_mul_f32_e32 v10, v77, v16
	;; [unrolled: 1-line block ×3, first 2 shown]
	v_fma_f32 v9, v31, v14, -v9
	v_fmac_f32_e32 v19, v39, v5
	v_fma_f32 v5, v33, v8, -v22
	v_fma_f32 v8, v29, v12, -v26
	v_fmac_f32_e32 v7, v31, v13
	v_fmac_f32_e32 v10, v76, v15
	v_fma_f32 v11, v76, v16, -v11
	v_sub_f32_e32 v6, v2, v6
	v_sub_f32_e32 v9, v4, v9
	;; [unrolled: 1-line block ×5, first 2 shown]
	v_fma_f32 v2, v2, 2.0, -v6
	v_sub_f32_e32 v8, v3, v8
	v_fma_f32 v4, v4, 2.0, -v9
	v_sub_f32_e32 v10, v21, v10
	v_sub_f32_e32 v11, v5, v11
	v_fma_f32 v1, v1, 2.0, -v12
	v_fma_f32 v14, v19, 2.0, -v7
	;; [unrolled: 1-line block ×4, first 2 shown]
	v_sub_f32_e32 v16, v2, v4
	v_fma_f32 v4, v21, 2.0, -v10
	v_add_f32_e32 v17, v12, v9
	v_fma_f32 v5, v5, 2.0, -v11
	v_sub_f32_e32 v19, v6, v7
	v_add_f32_e32 v21, v13, v11
	v_sub_f32_e32 v10, v8, v10
	v_sub_f32_e32 v14, v1, v14
	v_fma_f32 v12, v12, 2.0, -v17
	v_sub_f32_e32 v20, v15, v4
	v_sub_f32_e32 v11, v3, v5
	v_fma_f32 v22, v6, 2.0, -v19
	v_fma_f32 v7, v13, 2.0, -v21
	;; [unrolled: 1-line block ×7, first 2 shown]
	v_fmamk_f32 v3, v7, 0xbf3504f3, v12
	v_fmamk_f32 v4, v6, 0xbf3504f3, v22
	v_fmamk_f32 v8, v10, 0x3f3504f3, v19
	v_sub_f32_e32 v1, v9, v1
	v_sub_f32_e32 v2, v18, v2
	v_fmac_f32_e32 v3, 0x3f3504f3, v6
	v_fmac_f32_e32 v4, 0xbf3504f3, v7
	v_fmamk_f32 v7, v21, 0x3f3504f3, v17
	v_fma_f32 v5, v9, 2.0, -v1
	v_add_f32_e32 v11, v14, v11
	v_fma_f32 v9, v12, 2.0, -v3
	v_sub_f32_e32 v12, v16, v20
	v_fmac_f32_e32 v7, 0x3f3504f3, v10
	v_fmac_f32_e32 v8, 0xbf3504f3, v21
	v_fma_f32 v6, v18, 2.0, -v2
	v_fma_f32 v10, v22, 2.0, -v4
	;; [unrolled: 1-line block ×6, first 2 shown]
	ds_write2st64_b64 v86, v[5:6], v[9:10] offset1:4
	ds_write2st64_b64 v86, v[13:14], v[15:16] offset0:8 offset1:12
	ds_write2st64_b64 v86, v[1:2], v[3:4] offset0:16 offset1:20
	ds_write2st64_b64 v86, v[11:12], v[7:8] offset0:24 offset1:28
	s_waitcnt lgkmcnt(0)
	s_barrier
	buffer_gl0_inv
	s_and_b32 exec_lo, exec_lo, vcc_lo
	s_cbranch_execz .LBB0_23
; %bb.22:
	v_lshlrev_b32_e32 v1, 3, v79
	v_lshlrev_b32_e32 v2, 3, v80
	s_clause 0x8
	global_load_dwordx2 v[33:34], v86, s[14:15]
	global_load_dwordx2 v[35:36], v86, s[14:15] offset:1024
	global_load_dwordx2 v[37:38], v95, s[14:15]
	global_load_dwordx2 v[39:40], v94, s[14:15]
	;; [unrolled: 1-line block ×7, first 2 shown]
	v_mad_u64_u32 v[65:66], null, s2, v73, 0
	s_clause 0x1
	global_load_dwordx2 v[51:52], v1, s[14:15]
	global_load_dwordx2 v[53:54], v2, s[14:15]
	v_lshlrev_b32_e32 v1, 3, v81
	v_lshlrev_b32_e32 v2, 3, v82
	v_mad_u64_u32 v[67:68], null, s0, v0, 0
	v_mad_u64_u32 v[87:88], null, s0, v82, 0
	s_clause 0x1
	global_load_dwordx2 v[55:56], v1, s[14:15]
	global_load_dwordx2 v[57:58], v2, s[14:15]
	v_lshlrev_b32_e32 v1, 3, v83
	v_lshlrev_b32_e32 v2, 3, v84
	v_mad_u64_u32 v[89:90], null, s0, v83, 0
	v_mad_u64_u32 v[91:92], null, s0, v84, 0
	global_load_dwordx2 v[59:60], v1, s[14:15]
	v_lshlrev_b32_e32 v1, 3, v85
	s_clause 0x1
	global_load_dwordx2 v[61:62], v2, s[14:15]
	global_load_dwordx2 v[63:64], v1, s[14:15]
	v_mad_u64_u32 v[93:94], null, s0, v85, 0
	v_mad_u64_u32 v[69:70], null, s0, v78, 0
	ds_read2st64_b64 v[1:4], v86 offset1:2
	ds_read2st64_b64 v[5:8], v86 offset0:4 offset1:6
	v_mad_u64_u32 v[71:72], null, s0, v79, 0
	ds_read2st64_b64 v[9:12], v86 offset0:8 offset1:10
	ds_read2st64_b64 v[13:16], v86 offset0:12 offset1:14
	;; [unrolled: 1-line block ×6, first 2 shown]
	v_mov_b32_e32 v86, v88
	v_mov_b32_e32 v88, v90
	;; [unrolled: 1-line block ×4, first 2 shown]
	v_mad_u64_u32 v[94:95], null, s3, v73, v[66:67]
	v_mad_u64_u32 v[74:75], null, s0, v80, 0
	;; [unrolled: 1-line block ×5, first 2 shown]
	v_mov_b32_e32 v66, v94
	v_mad_u64_u32 v[72:73], null, s1, v79, v[72:73]
	v_mad_u64_u32 v[78:79], null, s1, v80, v[75:76]
	v_mov_b32_e32 v68, v95
	v_lshlrev_b64 v[65:66], 3, v[65:66]
	v_mov_b32_e32 v70, v96
	s_lshl_b64 s[4:5], s[0:1], 11
	v_lshlrev_b64 v[71:72], 3, v[71:72]
	v_lshlrev_b64 v[67:68], 3, v[67:68]
	v_mad_u64_u32 v[79:80], null, s1, v81, v[77:78]
	v_add_co_u32 v0, vcc_lo, s12, v65
	v_lshlrev_b64 v[69:70], 3, v[69:70]
	v_add_co_ci_u32_e32 v95, vcc_lo, s13, v66, vcc_lo
	v_mad_u64_u32 v[80:81], null, s1, v82, v[86:87]
	v_mad_u64_u32 v[81:82], null, s1, v83, v[88:89]
	;; [unrolled: 1-line block ×3, first 2 shown]
	v_add_co_u32 v67, vcc_lo, v0, v67
	v_mad_u64_u32 v[83:84], null, s1, v85, v[92:93]
	v_mov_b32_e32 v75, v78
	v_add_co_ci_u32_e32 v68, vcc_lo, v95, v68, vcc_lo
	v_add_co_u32 v69, vcc_lo, v0, v69
	v_add_co_ci_u32_e32 v70, vcc_lo, v95, v70, vcc_lo
	v_lshlrev_b64 v[73:74], 3, v[74:75]
	v_add_co_u32 v71, vcc_lo, v0, v71
	v_mov_b32_e32 v77, v79
	v_add_co_ci_u32_e32 v72, vcc_lo, v95, v72, vcc_lo
	v_mov_b32_e32 v94, v83
	v_add_co_u32 v83, vcc_lo, v67, s4
	v_add_co_ci_u32_e32 v84, vcc_lo, s5, v68, vcc_lo
	v_lshlrev_b64 v[75:76], 3, v[76:77]
	v_add_co_u32 v73, vcc_lo, v0, v73
	v_mov_b32_e32 v88, v80
	v_add_co_ci_u32_e32 v74, vcc_lo, v95, v74, vcc_lo
	v_add_co_u32 v85, vcc_lo, v83, s4
	v_add_co_ci_u32_e32 v86, vcc_lo, s5, v84, vcc_lo
	v_lshlrev_b64 v[77:78], 3, v[87:88]
	v_add_co_u32 v75, vcc_lo, v0, v75
	v_mov_b32_e32 v90, v81
	v_add_co_ci_u32_e32 v76, vcc_lo, v95, v76, vcc_lo
	;; [unrolled: 6-line block ×3, first 2 shown]
	v_add_co_u32 v89, vcc_lo, v87, s4
	v_add_co_ci_u32_e32 v90, vcc_lo, s5, v88, vcc_lo
	v_lshlrev_b64 v[81:82], 3, v[91:92]
	v_add_co_u32 v79, vcc_lo, v0, v79
	v_add_co_ci_u32_e32 v80, vcc_lo, v95, v80, vcc_lo
	v_add_co_u32 v91, vcc_lo, v89, s4
	v_add_co_ci_u32_e32 v92, vcc_lo, s5, v90, vcc_lo
	v_lshlrev_b64 v[65:66], 3, v[93:94]
	v_add_co_u32 v81, vcc_lo, v0, v81
	v_add_co_ci_u32_e32 v82, vcc_lo, v95, v82, vcc_lo
	v_add_co_u32 v93, vcc_lo, v91, s4
	v_add_co_ci_u32_e32 v94, vcc_lo, s5, v92, vcc_lo
	;; [unrolled: 2-line block ×4, first 2 shown]
	s_waitcnt vmcnt(15) lgkmcnt(7)
	v_mul_f32_e32 v0, v2, v34
	v_mul_f32_e32 v34, v1, v34
	s_waitcnt vmcnt(13) lgkmcnt(6)
	v_mul_f32_e32 v98, v6, v38
	v_mul_f32_e32 v38, v5, v38
	;; [unrolled: 1-line block ×4, first 2 shown]
	s_waitcnt vmcnt(12) lgkmcnt(5)
	v_mul_f32_e32 v99, v10, v40
	v_mul_f32_e32 v40, v9, v40
	s_waitcnt vmcnt(11) lgkmcnt(4)
	v_mul_f32_e32 v100, v14, v42
	v_mul_f32_e32 v42, v13, v42
	;; [unrolled: 3-line block ×6, first 2 shown]
	v_fmac_f32_e32 v0, v1, v33
	v_fma_f32 v1, v33, v2, -v34
	v_fmac_f32_e32 v98, v5, v37
	v_fma_f32 v5, v37, v6, -v38
	s_waitcnt vmcnt(6)
	v_mul_f32_e32 v33, v8, v52
	v_mul_f32_e32 v6, v7, v52
	v_fmac_f32_e32 v97, v3, v35
	v_fma_f32 v3, v35, v4, -v36
	v_fmac_f32_e32 v99, v9, v39
	v_fma_f32 v9, v39, v10, -v40
	s_waitcnt vmcnt(5)
	v_mul_f32_e32 v34, v12, v54
	v_mul_f32_e32 v10, v11, v54
	v_fmac_f32_e32 v100, v13, v41
	v_fma_f32 v13, v41, v14, -v42
	s_waitcnt vmcnt(4)
	v_mul_f32_e32 v35, v16, v56
	v_mul_f32_e32 v14, v15, v56
	;; [unrolled: 5-line block ×6, first 2 shown]
	v_mul_f32_e32 v0, 0x3a000000, v0
	v_mul_f32_e32 v1, 0x3a000000, v1
	v_fmac_f32_e32 v33, v7, v51
	v_fma_f32 v40, v51, v8, -v6
	v_mul_f32_e32 v2, 0x3a000000, v97
	v_mul_f32_e32 v3, 0x3a000000, v3
	;; [unrolled: 1-line block ×4, first 2 shown]
	v_fmac_f32_e32 v34, v11, v53
	v_fma_f32 v41, v53, v12, -v10
	v_fmac_f32_e32 v35, v15, v55
	v_fma_f32 v42, v55, v16, -v14
	v_mul_f32_e32 v7, 0x3a000000, v9
	v_mul_f32_e32 v9, 0x3a000000, v13
	v_fmac_f32_e32 v18, v19, v57
	v_fma_f32 v19, v57, v20, -v36
	v_mul_f32_e32 v13, 0x3a000000, v21
	v_fmac_f32_e32 v22, v23, v59
	v_fma_f32 v21, v59, v24, -v37
	;; [unrolled: 3-line block ×3, first 2 shown]
	v_fmac_f32_e32 v30, v31, v63
	v_fma_f32 v25, v63, v32, -v39
	global_store_dwordx2 v[67:68], v[0:1], off
	global_store_dwordx2 v[69:70], v[2:3], off
	;; [unrolled: 1-line block ×3, first 2 shown]
	v_mul_f32_e32 v0, 0x3a000000, v33
	v_mul_f32_e32 v1, 0x3a000000, v40
	;; [unrolled: 1-line block ×22, first 2 shown]
	global_store_dwordx2 v[71:72], v[0:1], off
	global_store_dwordx2 v[85:86], v[6:7], off
	;; [unrolled: 1-line block ×13, first 2 shown]
.LBB0_23:
	s_endpgm
	.section	.rodata,"a",@progbits
	.p2align	6, 0x0
	.amdhsa_kernel bluestein_single_back_len2048_dim1_sp_op_CI_CI
		.amdhsa_group_segment_fixed_size 16384
		.amdhsa_private_segment_fixed_size 0
		.amdhsa_kernarg_size 104
		.amdhsa_user_sgpr_count 6
		.amdhsa_user_sgpr_private_segment_buffer 1
		.amdhsa_user_sgpr_dispatch_ptr 0
		.amdhsa_user_sgpr_queue_ptr 0
		.amdhsa_user_sgpr_kernarg_segment_ptr 1
		.amdhsa_user_sgpr_dispatch_id 0
		.amdhsa_user_sgpr_flat_scratch_init 0
		.amdhsa_user_sgpr_private_segment_size 0
		.amdhsa_wavefront_size32 1
		.amdhsa_uses_dynamic_stack 0
		.amdhsa_system_sgpr_private_segment_wavefront_offset 0
		.amdhsa_system_sgpr_workgroup_id_x 1
		.amdhsa_system_sgpr_workgroup_id_y 0
		.amdhsa_system_sgpr_workgroup_id_z 0
		.amdhsa_system_sgpr_workgroup_info 0
		.amdhsa_system_vgpr_workitem_id 0
		.amdhsa_next_free_vgpr 178
		.amdhsa_next_free_sgpr 16
		.amdhsa_reserve_vcc 1
		.amdhsa_reserve_flat_scratch 0
		.amdhsa_float_round_mode_32 0
		.amdhsa_float_round_mode_16_64 0
		.amdhsa_float_denorm_mode_32 3
		.amdhsa_float_denorm_mode_16_64 3
		.amdhsa_dx10_clamp 1
		.amdhsa_ieee_mode 1
		.amdhsa_fp16_overflow 0
		.amdhsa_workgroup_processor_mode 1
		.amdhsa_memory_ordered 1
		.amdhsa_forward_progress 0
		.amdhsa_shared_vgpr_count 0
		.amdhsa_exception_fp_ieee_invalid_op 0
		.amdhsa_exception_fp_denorm_src 0
		.amdhsa_exception_fp_ieee_div_zero 0
		.amdhsa_exception_fp_ieee_overflow 0
		.amdhsa_exception_fp_ieee_underflow 0
		.amdhsa_exception_fp_ieee_inexact 0
		.amdhsa_exception_int_div_zero 0
	.end_amdhsa_kernel
	.text
.Lfunc_end0:
	.size	bluestein_single_back_len2048_dim1_sp_op_CI_CI, .Lfunc_end0-bluestein_single_back_len2048_dim1_sp_op_CI_CI
                                        ; -- End function
	.section	.AMDGPU.csdata,"",@progbits
; Kernel info:
; codeLenInByte = 10824
; NumSgprs: 18
; NumVgprs: 178
; ScratchSize: 0
; MemoryBound: 0
; FloatMode: 240
; IeeeMode: 1
; LDSByteSize: 16384 bytes/workgroup (compile time only)
; SGPRBlocks: 2
; VGPRBlocks: 22
; NumSGPRsForWavesPerEU: 18
; NumVGPRsForWavesPerEU: 178
; Occupancy: 5
; WaveLimiterHint : 1
; COMPUTE_PGM_RSRC2:SCRATCH_EN: 0
; COMPUTE_PGM_RSRC2:USER_SGPR: 6
; COMPUTE_PGM_RSRC2:TRAP_HANDLER: 0
; COMPUTE_PGM_RSRC2:TGID_X_EN: 1
; COMPUTE_PGM_RSRC2:TGID_Y_EN: 0
; COMPUTE_PGM_RSRC2:TGID_Z_EN: 0
; COMPUTE_PGM_RSRC2:TIDIG_COMP_CNT: 0
	.text
	.p2alignl 6, 3214868480
	.fill 48, 4, 3214868480
	.type	__hip_cuid_3d0cf922989de0be,@object ; @__hip_cuid_3d0cf922989de0be
	.section	.bss,"aw",@nobits
	.globl	__hip_cuid_3d0cf922989de0be
__hip_cuid_3d0cf922989de0be:
	.byte	0                               ; 0x0
	.size	__hip_cuid_3d0cf922989de0be, 1

	.ident	"AMD clang version 19.0.0git (https://github.com/RadeonOpenCompute/llvm-project roc-6.4.0 25133 c7fe45cf4b819c5991fe208aaa96edf142730f1d)"
	.section	".note.GNU-stack","",@progbits
	.addrsig
	.addrsig_sym __hip_cuid_3d0cf922989de0be
	.amdgpu_metadata
---
amdhsa.kernels:
  - .args:
      - .actual_access:  read_only
        .address_space:  global
        .offset:         0
        .size:           8
        .value_kind:     global_buffer
      - .actual_access:  read_only
        .address_space:  global
        .offset:         8
        .size:           8
        .value_kind:     global_buffer
      - .actual_access:  read_only
        .address_space:  global
        .offset:         16
        .size:           8
        .value_kind:     global_buffer
      - .actual_access:  read_only
        .address_space:  global
        .offset:         24
        .size:           8
        .value_kind:     global_buffer
      - .actual_access:  read_only
        .address_space:  global
        .offset:         32
        .size:           8
        .value_kind:     global_buffer
      - .offset:         40
        .size:           8
        .value_kind:     by_value
      - .address_space:  global
        .offset:         48
        .size:           8
        .value_kind:     global_buffer
      - .address_space:  global
        .offset:         56
        .size:           8
        .value_kind:     global_buffer
      - .address_space:  global
        .offset:         64
        .size:           8
        .value_kind:     global_buffer
      - .address_space:  global
        .offset:         72
        .size:           8
        .value_kind:     global_buffer
      - .offset:         80
        .size:           4
        .value_kind:     by_value
      - .address_space:  global
        .offset:         88
        .size:           8
        .value_kind:     global_buffer
      - .address_space:  global
        .offset:         96
        .size:           8
        .value_kind:     global_buffer
    .group_segment_fixed_size: 16384
    .kernarg_segment_align: 8
    .kernarg_segment_size: 104
    .language:       OpenCL C
    .language_version:
      - 2
      - 0
    .max_flat_workgroup_size: 256
    .name:           bluestein_single_back_len2048_dim1_sp_op_CI_CI
    .private_segment_fixed_size: 0
    .sgpr_count:     18
    .sgpr_spill_count: 0
    .symbol:         bluestein_single_back_len2048_dim1_sp_op_CI_CI.kd
    .uniform_work_group_size: 1
    .uses_dynamic_stack: false
    .vgpr_count:     178
    .vgpr_spill_count: 0
    .wavefront_size: 32
    .workgroup_processor_mode: 1
amdhsa.target:   amdgcn-amd-amdhsa--gfx1030
amdhsa.version:
  - 1
  - 2
...

	.end_amdgpu_metadata
